;; amdgpu-corpus repo=ROCm/rocFFT kind=compiled arch=gfx1030 opt=O3
	.text
	.amdgcn_target "amdgcn-amd-amdhsa--gfx1030"
	.amdhsa_code_object_version 6
	.protected	fft_rtc_back_len864_factors_3_6_16_3_wgs_54_tpt_54_halfLds_half_op_CI_CI_unitstride_sbrr_dirReg ; -- Begin function fft_rtc_back_len864_factors_3_6_16_3_wgs_54_tpt_54_halfLds_half_op_CI_CI_unitstride_sbrr_dirReg
	.globl	fft_rtc_back_len864_factors_3_6_16_3_wgs_54_tpt_54_halfLds_half_op_CI_CI_unitstride_sbrr_dirReg
	.p2align	8
	.type	fft_rtc_back_len864_factors_3_6_16_3_wgs_54_tpt_54_halfLds_half_op_CI_CI_unitstride_sbrr_dirReg,@function
fft_rtc_back_len864_factors_3_6_16_3_wgs_54_tpt_54_halfLds_half_op_CI_CI_unitstride_sbrr_dirReg: ; @fft_rtc_back_len864_factors_3_6_16_3_wgs_54_tpt_54_halfLds_half_op_CI_CI_unitstride_sbrr_dirReg
; %bb.0:
	s_clause 0x2
	s_load_dwordx4 s[8:11], s[4:5], 0x0
	s_load_dwordx4 s[12:15], s[4:5], 0x58
	;; [unrolled: 1-line block ×3, first 2 shown]
	v_mul_u32_u24_e32 v1, 0x4be, v0
	v_mov_b32_e32 v8, 0
	v_add_nc_u32_sdwa v10, s6, v1 dst_sel:DWORD dst_unused:UNUSED_PAD src0_sel:DWORD src1_sel:WORD_1
	v_mov_b32_e32 v1, 0
	v_mov_b32_e32 v11, v8
	v_mov_b32_e32 v2, 0
	s_waitcnt lgkmcnt(0)
	v_cmp_lt_u64_e64 s0, s[10:11], 2
	s_and_b32 vcc_lo, exec_lo, s0
	s_cbranch_vccnz .LBB0_8
; %bb.1:
	s_load_dwordx2 s[0:1], s[4:5], 0x10
	v_mov_b32_e32 v1, 0
	v_mov_b32_e32 v2, 0
	s_add_u32 s2, s18, 8
	s_addc_u32 s3, s19, 0
	s_add_u32 s6, s16, 8
	s_addc_u32 s7, s17, 0
	v_mov_b32_e32 v5, v2
	v_mov_b32_e32 v4, v1
	s_mov_b64 s[22:23], 1
	s_waitcnt lgkmcnt(0)
	s_add_u32 s20, s0, 8
	s_addc_u32 s21, s1, 0
.LBB0_2:                                ; =>This Inner Loop Header: Depth=1
	s_load_dwordx2 s[24:25], s[20:21], 0x0
                                        ; implicit-def: $vgpr6_vgpr7
	s_mov_b32 s0, exec_lo
	s_waitcnt lgkmcnt(0)
	v_or_b32_e32 v9, s25, v11
	v_cmpx_ne_u64_e32 0, v[8:9]
	s_xor_b32 s1, exec_lo, s0
	s_cbranch_execz .LBB0_4
; %bb.3:                                ;   in Loop: Header=BB0_2 Depth=1
	v_cvt_f32_u32_e32 v3, s24
	v_cvt_f32_u32_e32 v6, s25
	s_sub_u32 s0, 0, s24
	s_subb_u32 s26, 0, s25
	v_fmac_f32_e32 v3, 0x4f800000, v6
	v_rcp_f32_e32 v3, v3
	v_mul_f32_e32 v3, 0x5f7ffffc, v3
	v_mul_f32_e32 v6, 0x2f800000, v3
	v_trunc_f32_e32 v6, v6
	v_fmac_f32_e32 v3, 0xcf800000, v6
	v_cvt_u32_f32_e32 v6, v6
	v_cvt_u32_f32_e32 v3, v3
	v_mul_lo_u32 v7, s0, v6
	v_mul_hi_u32 v9, s0, v3
	v_mul_lo_u32 v12, s26, v3
	v_add_nc_u32_e32 v7, v9, v7
	v_mul_lo_u32 v9, s0, v3
	v_add_nc_u32_e32 v7, v7, v12
	v_mul_hi_u32 v12, v3, v9
	v_mul_lo_u32 v13, v3, v7
	v_mul_hi_u32 v14, v3, v7
	v_mul_hi_u32 v15, v6, v9
	v_mul_lo_u32 v9, v6, v9
	v_mul_hi_u32 v16, v6, v7
	v_mul_lo_u32 v7, v6, v7
	v_add_co_u32 v12, vcc_lo, v12, v13
	v_add_co_ci_u32_e32 v13, vcc_lo, 0, v14, vcc_lo
	v_add_co_u32 v9, vcc_lo, v12, v9
	v_add_co_ci_u32_e32 v9, vcc_lo, v13, v15, vcc_lo
	v_add_co_ci_u32_e32 v12, vcc_lo, 0, v16, vcc_lo
	v_add_co_u32 v7, vcc_lo, v9, v7
	v_add_co_ci_u32_e32 v9, vcc_lo, 0, v12, vcc_lo
	v_add_co_u32 v3, vcc_lo, v3, v7
	v_add_co_ci_u32_e32 v6, vcc_lo, v6, v9, vcc_lo
	v_mul_hi_u32 v7, s0, v3
	v_mul_lo_u32 v12, s26, v3
	v_mul_lo_u32 v9, s0, v6
	v_add_nc_u32_e32 v7, v7, v9
	v_mul_lo_u32 v9, s0, v3
	v_add_nc_u32_e32 v7, v7, v12
	v_mul_hi_u32 v12, v3, v9
	v_mul_lo_u32 v13, v3, v7
	v_mul_hi_u32 v14, v3, v7
	v_mul_hi_u32 v15, v6, v9
	v_mul_lo_u32 v9, v6, v9
	v_mul_hi_u32 v16, v6, v7
	v_mul_lo_u32 v7, v6, v7
	v_add_co_u32 v12, vcc_lo, v12, v13
	v_add_co_ci_u32_e32 v13, vcc_lo, 0, v14, vcc_lo
	v_add_co_u32 v9, vcc_lo, v12, v9
	v_add_co_ci_u32_e32 v9, vcc_lo, v13, v15, vcc_lo
	v_add_co_ci_u32_e32 v12, vcc_lo, 0, v16, vcc_lo
	v_add_co_u32 v7, vcc_lo, v9, v7
	v_add_co_ci_u32_e32 v9, vcc_lo, 0, v12, vcc_lo
	v_add_co_u32 v3, vcc_lo, v3, v7
	v_add_co_ci_u32_e32 v9, vcc_lo, v6, v9, vcc_lo
	v_mul_hi_u32 v16, v10, v3
	v_mad_u64_u32 v[12:13], null, v11, v3, 0
	v_mad_u64_u32 v[6:7], null, v10, v9, 0
	;; [unrolled: 1-line block ×3, first 2 shown]
	v_add_co_u32 v3, vcc_lo, v16, v6
	v_add_co_ci_u32_e32 v6, vcc_lo, 0, v7, vcc_lo
	v_add_co_u32 v3, vcc_lo, v3, v12
	v_add_co_ci_u32_e32 v3, vcc_lo, v6, v13, vcc_lo
	v_add_co_ci_u32_e32 v6, vcc_lo, 0, v15, vcc_lo
	v_add_co_u32 v3, vcc_lo, v3, v14
	v_add_co_ci_u32_e32 v9, vcc_lo, 0, v6, vcc_lo
	v_mul_lo_u32 v12, s25, v3
	v_mad_u64_u32 v[6:7], null, s24, v3, 0
	v_mul_lo_u32 v13, s24, v9
	v_sub_co_u32 v6, vcc_lo, v10, v6
	v_add3_u32 v7, v7, v13, v12
	v_sub_nc_u32_e32 v12, v11, v7
	v_subrev_co_ci_u32_e64 v12, s0, s25, v12, vcc_lo
	v_add_co_u32 v13, s0, v3, 2
	v_add_co_ci_u32_e64 v14, s0, 0, v9, s0
	v_sub_co_u32 v15, s0, v6, s24
	v_sub_co_ci_u32_e32 v7, vcc_lo, v11, v7, vcc_lo
	v_subrev_co_ci_u32_e64 v12, s0, 0, v12, s0
	v_cmp_le_u32_e32 vcc_lo, s24, v15
	v_cmp_eq_u32_e64 s0, s25, v7
	v_cndmask_b32_e64 v15, 0, -1, vcc_lo
	v_cmp_le_u32_e32 vcc_lo, s25, v12
	v_cndmask_b32_e64 v16, 0, -1, vcc_lo
	v_cmp_le_u32_e32 vcc_lo, s24, v6
	;; [unrolled: 2-line block ×3, first 2 shown]
	v_cndmask_b32_e64 v17, 0, -1, vcc_lo
	v_cmp_eq_u32_e32 vcc_lo, s25, v12
	v_cndmask_b32_e64 v6, v17, v6, s0
	v_cndmask_b32_e32 v12, v16, v15, vcc_lo
	v_add_co_u32 v15, vcc_lo, v3, 1
	v_add_co_ci_u32_e32 v16, vcc_lo, 0, v9, vcc_lo
	v_cmp_ne_u32_e32 vcc_lo, 0, v12
	v_cndmask_b32_e32 v7, v16, v14, vcc_lo
	v_cndmask_b32_e32 v12, v15, v13, vcc_lo
	v_cmp_ne_u32_e32 vcc_lo, 0, v6
	v_cndmask_b32_e32 v7, v9, v7, vcc_lo
	v_cndmask_b32_e32 v6, v3, v12, vcc_lo
.LBB0_4:                                ;   in Loop: Header=BB0_2 Depth=1
	s_andn2_saveexec_b32 s0, s1
	s_cbranch_execz .LBB0_6
; %bb.5:                                ;   in Loop: Header=BB0_2 Depth=1
	v_cvt_f32_u32_e32 v3, s24
	s_sub_i32 s1, 0, s24
	v_rcp_iflag_f32_e32 v3, v3
	v_mul_f32_e32 v3, 0x4f7ffffe, v3
	v_cvt_u32_f32_e32 v3, v3
	v_mul_lo_u32 v6, s1, v3
	v_mul_hi_u32 v6, v3, v6
	v_add_nc_u32_e32 v3, v3, v6
	v_mul_hi_u32 v3, v10, v3
	v_mul_lo_u32 v6, v3, s24
	v_add_nc_u32_e32 v7, 1, v3
	v_sub_nc_u32_e32 v6, v10, v6
	v_subrev_nc_u32_e32 v9, s24, v6
	v_cmp_le_u32_e32 vcc_lo, s24, v6
	v_cndmask_b32_e32 v6, v6, v9, vcc_lo
	v_cndmask_b32_e32 v3, v3, v7, vcc_lo
	v_cmp_le_u32_e32 vcc_lo, s24, v6
	v_add_nc_u32_e32 v7, 1, v3
	v_cndmask_b32_e32 v6, v3, v7, vcc_lo
	v_mov_b32_e32 v7, v8
.LBB0_6:                                ;   in Loop: Header=BB0_2 Depth=1
	s_or_b32 exec_lo, exec_lo, s0
	v_mul_lo_u32 v3, v7, s24
	v_mul_lo_u32 v9, v6, s25
	s_load_dwordx2 s[0:1], s[6:7], 0x0
	v_mad_u64_u32 v[12:13], null, v6, s24, 0
	s_load_dwordx2 s[24:25], s[2:3], 0x0
	s_add_u32 s22, s22, 1
	s_addc_u32 s23, s23, 0
	s_add_u32 s2, s2, 8
	s_addc_u32 s3, s3, 0
	s_add_u32 s6, s6, 8
	v_add3_u32 v3, v13, v9, v3
	v_sub_co_u32 v9, vcc_lo, v10, v12
	s_addc_u32 s7, s7, 0
	s_add_u32 s20, s20, 8
	v_sub_co_ci_u32_e32 v3, vcc_lo, v11, v3, vcc_lo
	s_addc_u32 s21, s21, 0
	s_waitcnt lgkmcnt(0)
	v_mul_lo_u32 v10, s0, v3
	v_mul_lo_u32 v11, s1, v9
	v_mad_u64_u32 v[1:2], null, s0, v9, v[1:2]
	v_mul_lo_u32 v3, s24, v3
	v_mul_lo_u32 v12, s25, v9
	v_mad_u64_u32 v[4:5], null, s24, v9, v[4:5]
	v_cmp_ge_u64_e64 s0, s[22:23], s[10:11]
	v_add3_u32 v2, v11, v2, v10
	v_add3_u32 v5, v12, v5, v3
	s_and_b32 vcc_lo, exec_lo, s0
	s_cbranch_vccnz .LBB0_9
; %bb.7:                                ;   in Loop: Header=BB0_2 Depth=1
	v_mov_b32_e32 v11, v7
	v_mov_b32_e32 v10, v6
	s_branch .LBB0_2
.LBB0_8:
	v_mov_b32_e32 v5, v2
	v_mov_b32_e32 v6, v10
	;; [unrolled: 1-line block ×4, first 2 shown]
.LBB0_9:
	s_load_dwordx2 s[2:3], s[4:5], 0x28
	v_mul_hi_u32 v17, 0x4bda130, v0
	s_lshl_b64 s[4:5], s[10:11], 3
                                        ; implicit-def: $vgpr16
	s_waitcnt lgkmcnt(0)
	v_cmp_gt_u64_e64 s0, s[2:3], v[6:7]
	v_cmp_le_u64_e32 vcc_lo, s[2:3], v[6:7]
	s_add_u32 s2, s18, s4
	s_addc_u32 s3, s19, s5
	s_and_saveexec_b32 s1, vcc_lo
	s_xor_b32 s1, exec_lo, s1
; %bb.10:
	v_mul_u32_u24_e32 v1, 54, v17
                                        ; implicit-def: $vgpr17
	v_sub_nc_u32_e32 v16, v0, v1
                                        ; implicit-def: $vgpr0
                                        ; implicit-def: $vgpr1_vgpr2
; %bb.11:
	s_or_saveexec_b32 s1, s1
	s_load_dwordx2 s[2:3], s[2:3], 0x0
                                        ; implicit-def: $vgpr9
                                        ; implicit-def: $vgpr8
                                        ; implicit-def: $vgpr54
                                        ; implicit-def: $vgpr43
                                        ; implicit-def: $vgpr49
                                        ; implicit-def: $vgpr45
                                        ; implicit-def: $vgpr23
                                        ; implicit-def: $vgpr13
                                        ; implicit-def: $vgpr55
                                        ; implicit-def: $vgpr36
                                        ; implicit-def: $vgpr52
                                        ; implicit-def: $vgpr44
                                        ; implicit-def: $vgpr40
                                        ; implicit-def: $vgpr14
                                        ; implicit-def: $vgpr53
                                        ; implicit-def: $vgpr15
                                        ; implicit-def: $vgpr48
                                        ; implicit-def: $vgpr35
                                        ; implicit-def: $vgpr42
                                        ; implicit-def: $vgpr24
                                        ; implicit-def: $vgpr51
                                        ; implicit-def: $vgpr22
                                        ; implicit-def: $vgpr50
                                        ; implicit-def: $vgpr37
                                        ; implicit-def: $vgpr3
                                        ; implicit-def: $vgpr10
                                        ; implicit-def: $vgpr47
                                        ; implicit-def: $vgpr20
                                        ; implicit-def: $vgpr46
                                        ; implicit-def: $vgpr21
                                        ; implicit-def: $vgpr12
                                        ; implicit-def: $vgpr11
                                        ; implicit-def: $vgpr38
                                        ; implicit-def: $vgpr39
                                        ; implicit-def: $vgpr41
                                        ; implicit-def: $vgpr34
	s_xor_b32 exec_lo, exec_lo, s1
	s_cbranch_execz .LBB0_15
; %bb.12:
	s_add_u32 s4, s16, s4
	s_addc_u32 s5, s17, s5
	v_lshlrev_b64 v[1:2], 2, v[1:2]
	s_load_dwordx2 s[4:5], s[4:5], 0x0
                                        ; implicit-def: $vgpr34
                                        ; implicit-def: $vgpr41
                                        ; implicit-def: $vgpr39
                                        ; implicit-def: $vgpr38
	s_waitcnt lgkmcnt(0)
	v_mul_lo_u32 v3, s5, v6
	v_mul_lo_u32 v10, s4, v7
	v_mad_u64_u32 v[8:9], null, s4, v6, 0
	s_mov_b32 s4, exec_lo
	v_add3_u32 v9, v9, v10, v3
	v_mul_u32_u24_e32 v3, 54, v17
	v_lshlrev_b64 v[8:9], 2, v[8:9]
	v_sub_nc_u32_e32 v16, v0, v3
	v_add_co_u32 v0, vcc_lo, s12, v8
	v_add_co_ci_u32_e32 v3, vcc_lo, s13, v9, vcc_lo
	v_lshlrev_b32_e32 v8, 2, v16
	v_add_co_u32 v9, vcc_lo, v0, v1
	v_add_co_ci_u32_e32 v2, vcc_lo, v3, v2, vcc_lo
	v_or_b32_e32 v3, 0x900, v8
	v_add_co_u32 v0, vcc_lo, v9, v8
	v_add_co_ci_u32_e32 v1, vcc_lo, 0, v2, vcc_lo
	v_add_co_u32 v11, vcc_lo, v9, v3
	v_add_co_ci_u32_e32 v12, vcc_lo, 0, v2, vcc_lo
	;; [unrolled: 2-line block ×3, first 2 shown]
	s_clause 0xe
	global_load_dword v36, v[0:1], off offset:1368
	global_load_dword v15, v[0:1], off offset:1584
	global_load_dword v8, v[0:1], off
	global_load_dword v13, v[0:1], off offset:216
	global_load_dword v14, v[0:1], off offset:432
	;; [unrolled: 1-line block ×10, first 2 shown]
	global_load_dword v45, v[11:12], off
	global_load_dword v20, v[0:1], off offset:2016
                                        ; implicit-def: $vgpr11
                                        ; implicit-def: $vgpr12
	v_cmpx_gt_u32_e32 18, v16
	s_cbranch_execz .LBB0_14
; %bb.13:
	s_clause 0x2
	global_load_dword v11, v[0:1], off offset:1080
	global_load_dword v34, v[2:3], off offset:184
	;; [unrolled: 1-line block ×3, first 2 shown]
	s_waitcnt vmcnt(2)
	v_lshrrev_b32_e32 v12, 16, v11
	s_waitcnt vmcnt(1)
	v_lshrrev_b32_e32 v41, 16, v34
	;; [unrolled: 2-line block ×3, first 2 shown]
.LBB0_14:
	s_or_b32 exec_lo, exec_lo, s4
	s_waitcnt vmcnt(12)
	v_lshrrev_b32_e32 v9, 16, v8
	s_waitcnt vmcnt(7)
	v_lshrrev_b32_e32 v54, 16, v43
	;; [unrolled: 2-line block ×3, first 2 shown]
	v_lshrrev_b32_e32 v23, 16, v13
	v_lshrrev_b32_e32 v55, 16, v36
	;; [unrolled: 1-line block ×10, first 2 shown]
	s_waitcnt vmcnt(0)
	v_lshrrev_b32_e32 v47, 16, v20
	v_lshrrev_b32_e32 v46, 16, v21
.LBB0_15:
	s_or_b32 exec_lo, exec_lo, s1
	v_add_f16_e32 v0, v43, v45
	v_add_f16_e32 v1, v8, v43
	v_sub_f16_e32 v2, v54, v49
	v_add_f16_e32 v17, v36, v44
	v_sub_f16_e32 v18, v55, v52
	v_fmac_f16_e32 v8, -0.5, v0
	v_add_f16_e32 v0, v13, v36
	v_add_f16_e32 v19, v11, v34
	v_fmac_f16_e32 v13, -0.5, v17
	v_add_f16_e32 v17, v22, v37
	v_fmamk_f16 v25, v2, 0xbaee, v8
	v_fmac_f16_e32 v8, 0x3aee, v2
	v_add_f16_e32 v26, v0, v44
	v_add_f16_e32 v0, v15, v35
	v_add_f16_e32 v2, v14, v15
	v_fmamk_f16 v27, v18, 0xbaee, v13
	v_fmac_f16_e32 v13, 0x3aee, v18
	v_sub_f16_e32 v18, v47, v46
	v_fmac_f16_e32 v14, -0.5, v0
	v_sub_f16_e32 v0, v53, v48
	v_add_f16_e32 v28, v2, v35
	v_add_f16_e32 v2, v24, v22
	v_fmac_f16_e32 v24, -0.5, v17
	v_sub_f16_e32 v17, v51, v50
	v_fmamk_f16 v29, v0, 0xbaee, v14
	v_fmac_f16_e32 v14, 0x3aee, v0
	v_add_f16_e32 v0, v20, v21
	v_add_f16_e32 v30, v2, v37
	v_fmamk_f16 v31, v17, 0xbaee, v24
	v_fmac_f16_e32 v24, 0x3aee, v17
	v_add_f16_e32 v17, v39, v34
	v_add_f16_e32 v2, v10, v20
	v_fmac_f16_e32 v10, -0.5, v0
	v_sub_f16_e32 v32, v41, v38
	v_add_f16_e32 v1, v1, v45
	v_fmac_f16_e32 v11, -0.5, v17
	v_add_f16_e32 v0, v2, v21
	v_fmamk_f16 v17, v18, 0xbaee, v10
	v_mad_u32_u24 v2, v16, 6, 0
	v_fmac_f16_e32 v10, 0x3aee, v18
	v_add_f16_e32 v18, v39, v19
	v_fmamk_f16 v19, v32, 0xbaee, v11
	v_fmac_f16_e32 v11, 0x3aee, v32
	v_cmp_gt_u32_e32 vcc_lo, 18, v16
	ds_write_b16 v2, v1
	ds_write_b16 v2, v25 offset:2
	ds_write_b16 v2, v8 offset:4
	;; [unrolled: 1-line block ×14, first 2 shown]
	s_and_saveexec_b32 s1, vcc_lo
	s_cbranch_execz .LBB0_17
; %bb.16:
	ds_write_b16 v2, v18 offset:1620
	ds_write_b16 v2, v19 offset:1622
	;; [unrolled: 1-line block ×3, first 2 shown]
.LBB0_17:
	s_or_b32 exec_lo, exec_lo, s1
	v_lshlrev_b32_e32 v1, 2, v16
	s_waitcnt lgkmcnt(0)
	s_barrier
	buffer_gl0_inv
	v_cmp_gt_u32_e64 s1, 36, v16
	v_sub_nc_u32_e32 v8, v2, v1
	ds_read_u16 v13, v8
	ds_read_u16 v29, v8 offset:1152
	ds_read_u16 v24, v8 offset:972
	;; [unrolled: 1-line block ×11, first 2 shown]
	s_and_saveexec_b32 s4, s1
	s_cbranch_execz .LBB0_19
; %bb.18:
	ds_read_u16 v0, v8 offset:216
	ds_read_u16 v17, v8 offset:504
	;; [unrolled: 1-line block ×6, first 2 shown]
.LBB0_19:
	s_or_b32 exec_lo, exec_lo, s4
	v_add_f16_e32 v1, v54, v49
	v_sub_f16_e32 v43, v43, v45
	v_add_f16_e32 v45, v55, v52
	v_add_f16_e32 v54, v9, v54
	v_sub_f16_e32 v36, v36, v44
	v_fmac_f16_e32 v9, -0.5, v1
	v_add_f16_e32 v1, v23, v55
	v_fmac_f16_e32 v23, -0.5, v45
	v_add_f16_e32 v44, v54, v49
	v_sub_f16_e32 v22, v22, v37
	v_fmamk_f16 v45, v43, 0x3aee, v9
	v_fmac_f16_e32 v9, 0xbaee, v43
	v_add_f16_e32 v43, v1, v52
	v_add_f16_e32 v1, v53, v48
	v_fmamk_f16 v49, v36, 0x3aee, v23
	v_fmac_f16_e32 v23, 0xbaee, v36
	v_add_f16_e32 v36, v51, v50
	v_add_f16_e32 v52, v40, v53
	v_fmac_f16_e32 v40, -0.5, v1
	v_sub_f16_e32 v1, v15, v35
	v_add_f16_e32 v35, v42, v51
	v_fmac_f16_e32 v42, -0.5, v36
	v_add_f16_e32 v15, v52, v48
	v_sub_f16_e32 v20, v20, v21
	v_fmamk_f16 v37, v1, 0x3aee, v40
	v_fmac_f16_e32 v40, 0xbaee, v1
	v_add_f16_e32 v48, v35, v50
	v_add_f16_e32 v1, v47, v46
	v_fmamk_f16 v50, v22, 0x3aee, v42
	v_fmac_f16_e32 v42, 0xbaee, v22
	v_add_f16_e32 v22, v38, v41
	v_add_f16_e32 v35, v3, v47
	v_fmac_f16_e32 v3, -0.5, v1
	v_add_f16_e32 v21, v12, v41
	s_waitcnt lgkmcnt(0)
	v_fmac_f16_e32 v12, -0.5, v22
	v_sub_f16_e32 v22, v34, v39
	v_add_f16_e32 v1, v35, v46
	v_fmamk_f16 v34, v20, 0x3aee, v3
	v_fmac_f16_e32 v3, 0xbaee, v20
	v_add_f16_e32 v35, v38, v21
	v_fmamk_f16 v36, v22, 0x3aee, v12
	v_fmac_f16_e32 v12, 0xbaee, v22
	s_barrier
	buffer_gl0_inv
	ds_write_b16 v2, v44
	ds_write_b16 v2, v45 offset:2
	ds_write_b16 v2, v9 offset:4
	;; [unrolled: 1-line block ×14, first 2 shown]
	s_and_saveexec_b32 s4, vcc_lo
	s_cbranch_execz .LBB0_21
; %bb.20:
	ds_write_b16 v2, v35 offset:1620
	ds_write_b16 v2, v36 offset:1622
	;; [unrolled: 1-line block ×3, first 2 shown]
.LBB0_21:
	s_or_b32 exec_lo, exec_lo, s4
	s_waitcnt lgkmcnt(0)
	s_barrier
	buffer_gl0_inv
	ds_read_u16 v20, v8
	ds_read_u16 v44, v8 offset:1152
	ds_read_u16 v38, v8 offset:972
	;; [unrolled: 1-line block ×11, first 2 shown]
	s_and_saveexec_b32 s4, s1
	s_cbranch_execz .LBB0_23
; %bb.22:
	ds_read_u16 v1, v8 offset:216
	ds_read_u16 v34, v8 offset:504
	ds_read_u16 v3, v8 offset:792
	ds_read_u16 v35, v8 offset:1080
	ds_read_u16 v36, v8 offset:1368
	ds_read_u16 v12, v8 offset:1656
.LBB0_23:
	s_or_b32 exec_lo, exec_lo, s4
	v_and_b32_e32 v2, 0xff, v16
	v_add_nc_u32_e32 v21, 54, v16
	v_mov_b32_e32 v39, 5
	v_mov_b32_e32 v51, 1
	v_mul_lo_u16 v9, 0xab, v2
	v_and_b32_e32 v22, 0xff, v21
	v_lshrrev_b16 v37, 9, v9
	v_mul_lo_u16 v22, 0xab, v22
	v_mul_lo_u16 v9, v37, 3
	v_lshrrev_b16 v52, 9, v22
	v_sub_nc_u16 v49, v16, v9
	v_add_nc_u32_e32 v9, 0x6c, v16
	v_mul_u32_u24_sdwa v23, v49, v39 dst_sel:DWORD dst_unused:UNUSED_PAD src0_sel:BYTE_0 src1_sel:DWORD
	v_and_b32_e32 v50, 0xff, v9
	v_lshlrev_b32_e32 v23, 2, v23
	v_mul_lo_u16 v22, 0xab, v50
	v_mul_lo_u16 v50, v52, 3
	s_clause 0x1
	global_load_dwordx4 v[54:57], v23, s[8:9]
	global_load_dword v66, v23, s[8:9] offset:16
	v_lshrrev_b16 v22, 9, v22
	v_sub_nc_u16 v53, v21, v50
	v_mul_lo_u16 v23, v22, 3
	v_mul_u32_u24_sdwa v50, v53, v39 dst_sel:DWORD dst_unused:UNUSED_PAD src0_sel:BYTE_0 src1_sel:DWORD
	v_sub_nc_u16 v23, v9, v23
	v_lshlrev_b32_e32 v50, 2, v50
	v_mul_u32_u24_sdwa v39, v23, v39 dst_sel:DWORD dst_unused:UNUSED_PAD src0_sel:BYTE_0 src1_sel:DWORD
	global_load_dwordx4 v[58:61], v50, s[8:9]
	v_lshlrev_b32_e32 v39, 2, v39
	s_clause 0x2
	global_load_dword v67, v50, s[8:9] offset:16
	global_load_dwordx4 v[62:65], v39, s[8:9]
	global_load_dword v68, v39, s[8:9] offset:16
	v_mov_b32_e32 v50, 36
	v_lshlrev_b32_sdwa v39, v51, v49 dst_sel:DWORD dst_unused:UNUSED_PAD src0_sel:DWORD src1_sel:BYTE_0
	v_lshlrev_b32_sdwa v49, v51, v53 dst_sel:DWORD dst_unused:UNUSED_PAD src0_sel:DWORD src1_sel:BYTE_0
	s_waitcnt vmcnt(0) lgkmcnt(0)
	s_barrier
	v_mul_u32_u24_sdwa v37, v37, v50 dst_sel:DWORD dst_unused:UNUSED_PAD src0_sel:WORD_0 src1_sel:DWORD
	v_mul_u32_u24_sdwa v52, v52, v50 dst_sel:DWORD dst_unused:UNUSED_PAD src0_sel:WORD_0 src1_sel:DWORD
	buffer_gl0_inv
	v_add3_u32 v39, 0, v37, v39
	v_add3_u32 v37, 0, v52, v49
	v_mul_f16_sdwa v49, v48, v54 dst_sel:DWORD dst_unused:UNUSED_PAD src0_sel:DWORD src1_sel:WORD_1
	v_mul_f16_sdwa v69, v33, v54 dst_sel:DWORD dst_unused:UNUSED_PAD src0_sel:DWORD src1_sel:WORD_1
	;; [unrolled: 1-line block ×10, first 2 shown]
	v_fmac_f16_e32 v49, v33, v54
	v_fma_f16 v48, v48, v54, -v69
	v_fmac_f16_e32 v52, v31, v55
	v_fma_f16 v54, v46, v55, -v70
	;; [unrolled: 2-line block ×5, first 2 shown]
	v_mul_f16_sdwa v29, v42, v58 dst_sel:DWORD dst_unused:UNUSED_PAD src0_sel:DWORD src1_sel:WORD_1
	v_mul_f16_sdwa v47, v27, v58 dst_sel:DWORD dst_unused:UNUSED_PAD src0_sel:DWORD src1_sel:WORD_1
	;; [unrolled: 1-line block ×20, first 2 shown]
	v_fmac_f16_e32 v29, v27, v58
	v_fma_f16 v27, v42, v58, -v47
	v_fmac_f16_e32 v32, v25, v59
	v_fmac_f16_e32 v69, v24, v60
	v_fma_f16 v42, v38, v60, -v70
	v_fmac_f16_e32 v33, v28, v61
	v_fma_f16 v24, v41, v67, -v75
	v_fmac_f16_e32 v30, v10, v63
	v_fmac_f16_e32 v57, v18, v64
	v_fma_f16 v41, v35, v64, -v78
	v_fmac_f16_e32 v31, v19, v65
	v_fmac_f16_e32 v56, v11, v68
	v_fma_f16 v12, v12, v68, -v80
	v_add_f16_e32 v10, v13, v52
	v_add_f16_e32 v11, v52, v53
	;; [unrolled: 1-line block ×5, first 2 shown]
	v_fma_f16 v47, v40, v59, -v66
	v_fma_f16 v25, v43, v61, -v72
	v_fmac_f16_e32 v73, v26, v67
	v_fmac_f16_e32 v55, v17, v62
	v_fma_f16 v38, v34, v62, -v76
	v_sub_f16_e32 v17, v54, v44
	v_add_f16_e32 v10, v10, v53
	v_fmac_f16_e32 v13, -0.5, v11
	v_add_f16_e32 v11, v18, v74
	v_fmac_f16_e32 v49, -0.5, v19
	v_fma_f16 v34, -0.5, v28, v48
	v_add_f16_e32 v19, v32, v33
	v_add_f16_e32 v28, v29, v69
	;; [unrolled: 1-line block ×4, first 2 shown]
	v_fma_f16 v40, v3, v63, -v77
	v_fma_f16 v3, v36, v65, -v79
	v_sub_f16_e32 v26, v46, v45
	v_sub_f16_e32 v35, v71, v74
	v_add_f16_e32 v18, v14, v32
	v_sub_f16_e32 v36, v47, v25
	v_add_f16_e32 v59, v69, v73
	;; [unrolled: 2-line block ×3, first 2 shown]
	v_sub_f16_e32 v68, v57, v56
	v_fmamk_f16 v69, v17, 0xbaee, v13
	v_fmac_f16_e32 v13, 0x3aee, v17
	v_add_f16_e32 v17, v10, v11
	v_sub_f16_e32 v70, v10, v11
	v_fmac_f16_e32 v14, -0.5, v19
	v_add_f16_e32 v19, v28, v73
	v_fma_f16 v28, -0.5, v61, v27
	v_fma_f16 v10, -0.5, v67, v38
	v_sub_f16_e32 v60, v42, v24
	v_add_f16_e32 v63, v30, v31
	v_sub_f16_e32 v66, v41, v12
	v_fmamk_f16 v43, v26, 0xbaee, v49
	v_fmac_f16_e32 v49, 0x3aee, v26
	v_fmamk_f16 v58, v35, 0x3aee, v34
	v_fmac_f16_e32 v34, 0xbaee, v35
	v_add_f16_e32 v18, v18, v33
	v_fmac_f16_e32 v29, -0.5, v59
	v_fma_f16 v11, -0.5, v65, v55
	v_fmamk_f16 v67, v36, 0xbaee, v14
	v_fmac_f16_e32 v14, 0x3aee, v36
	v_fmamk_f16 v36, v62, 0x3aee, v28
	v_fmac_f16_e32 v28, 0xbaee, v62
	;; [unrolled: 2-line block ×3, first 2 shown]
	v_sub_f16_e32 v64, v40, v3
	v_fma_f16 v59, -0.5, v63, v0
	v_mul_f16_e32 v63, 0xbaee, v58
	v_mul_f16_e32 v65, 0xbaee, v34
	v_fmamk_f16 v35, v60, 0xbaee, v29
	v_fmac_f16_e32 v29, 0x3aee, v60
	v_add_f16_e32 v71, v18, v19
	v_sub_f16_e32 v72, v18, v19
	v_fmamk_f16 v19, v66, 0xbaee, v11
	v_fmac_f16_e32 v11, 0x3aee, v66
	ds_write_b16 v39, v17
	ds_write_b16 v39, v70 offset:18
	v_mul_f16_e32 v17, 0xbaee, v36
	v_mul_f16_e32 v18, 0xbaee, v28
	;; [unrolled: 1-line block ×4, first 2 shown]
	v_fmamk_f16 v60, v64, 0xbaee, v59
	v_fmac_f16_e32 v59, 0x3aee, v64
	v_fmac_f16_e32 v63, 0.5, v43
	v_fmac_f16_e32 v65, -0.5, v49
	v_fmac_f16_e32 v17, 0.5, v35
	v_fmac_f16_e32 v18, -0.5, v29
	;; [unrolled: 2-line block ×3, first 2 shown]
	v_add_f16_e32 v64, v69, v63
	v_sub_f16_e32 v63, v69, v63
	v_add_f16_e32 v66, v13, v65
	v_sub_f16_e32 v13, v13, v65
	v_add_f16_e32 v65, v67, v17
	v_sub_f16_e32 v67, v67, v17
	v_add_f16_e32 v68, v14, v18
	v_sub_f16_e32 v14, v14, v18
	v_sub_f16_e32 v17, v60, v61
	v_sub_f16_e32 v18, v59, v62
	ds_write_b16 v39, v64 offset:6
	ds_write_b16 v39, v66 offset:12
	;; [unrolled: 1-line block ×4, first 2 shown]
	ds_write_b16 v37, v71
	ds_write_b16 v37, v72 offset:18
	ds_write_b16 v37, v65 offset:6
	;; [unrolled: 1-line block ×5, first 2 shown]
	s_and_saveexec_b32 s4, s1
	s_cbranch_execz .LBB0_25
; %bb.24:
	v_add_f16_e32 v0, v0, v30
	v_add_f16_e32 v13, v55, v57
	v_mul_u32_u24_sdwa v14, v22, v50 dst_sel:DWORD dst_unused:UNUSED_PAD src0_sel:WORD_0 src1_sel:DWORD
	v_lshlrev_b32_sdwa v50, v51, v23 dst_sel:DWORD dst_unused:UNUSED_PAD src0_sel:DWORD src1_sel:BYTE_0
	v_add_f16_e32 v51, v60, v61
	v_add_f16_e32 v0, v0, v31
	;; [unrolled: 1-line block ×3, first 2 shown]
	v_add3_u32 v14, 0, v14, v50
	v_add_f16_e32 v50, v59, v62
	v_add_f16_e32 v55, v0, v13
	v_sub_f16_e32 v0, v0, v13
	ds_write_b16 v14, v51 offset:6
	ds_write_b16 v14, v50 offset:12
	;; [unrolled: 1-line block ×3, first 2 shown]
	ds_write_b16 v14, v55
	ds_write_b16 v14, v0 offset:18
	ds_write_b16 v14, v18 offset:30
.LBB0_25:
	s_or_b32 exec_lo, exec_lo, s4
	v_add_f16_e32 v0, v54, v44
	v_add_f16_e32 v13, v20, v54
	v_sub_f16_e32 v14, v52, v53
	v_add_f16_e32 v46, v48, v46
	v_mul_f16_e32 v48, 0.5, v58
	v_fmac_f16_e32 v20, -0.5, v0
	v_mul_f16_e32 v0, -0.5, v34
	v_add_f16_e32 v13, v13, v44
	v_add_f16_e32 v34, v46, v45
	v_fmac_f16_e32 v48, 0x3aee, v43
	v_fmamk_f16 v43, v14, 0x3aee, v20
	v_fmac_f16_e32 v0, 0x3aee, v49
	v_fmac_f16_e32 v20, 0xbaee, v14
	v_add_f16_e32 v14, v47, v25
	v_add_f16_e32 v45, v13, v34
	v_sub_f16_e32 v50, v13, v34
	v_add_f16_e32 v13, v15, v47
	v_add_f16_e32 v49, v20, v0
	v_sub_f16_e32 v47, v20, v0
	v_add_f16_e32 v0, v27, v42
	v_fmac_f16_e32 v15, -0.5, v14
	v_sub_f16_e32 v14, v32, v33
	v_add_f16_e32 v46, v43, v48
	v_sub_f16_e32 v48, v43, v48
	v_add_f16_e32 v24, v0, v24
	v_add_f16_e32 v0, v40, v3
	v_mul_f16_e32 v20, 0.5, v36
	v_add_f16_e32 v13, v13, v25
	v_fmamk_f16 v51, v14, 0x3aee, v15
	v_mul_f16_e32 v52, -0.5, v28
	v_fmac_f16_e32 v15, 0xbaee, v14
	v_fma_f16 v0, -0.5, v0, v1
	v_sub_f16_e32 v14, v30, v31
	v_mul_f16_e32 v43, -0.5, v10
	v_lshl_add_u32 v10, v16, 1, 0
	v_fmac_f16_e32 v20, 0x3aee, v35
	v_fmac_f16_e32 v52, 0x3aee, v29
	v_add_f16_e32 v53, v13, v24
	v_mul_f16_e32 v42, 0.5, v26
	v_sub_f16_e32 v56, v13, v24
	v_fmamk_f16 v44, v14, 0x3aee, v0
	v_fmac_f16_e32 v0, 0xbaee, v14
	v_fmac_f16_e32 v43, 0x3aee, v11
	s_waitcnt lgkmcnt(0)
	s_barrier
	buffer_gl0_inv
	ds_read_u16 v34, v10 offset:324
	ds_read_u16 v32, v10 offset:432
	;; [unrolled: 1-line block ×3, first 2 shown]
	ds_read_u16 v13, v8
	ds_read_u16 v35, v8 offset:108
	ds_read_u16 v33, v8 offset:648
	;; [unrolled: 1-line block ×12, first 2 shown]
	v_fmac_f16_e32 v42, 0x3aee, v19
	v_add_f16_e32 v54, v51, v20
	v_sub_f16_e32 v51, v51, v20
	v_sub_f16_e32 v20, v0, v43
	v_add_f16_e32 v55, v15, v52
	v_sub_f16_e32 v19, v44, v42
	v_sub_f16_e32 v15, v15, v52
	s_waitcnt lgkmcnt(0)
	s_barrier
	buffer_gl0_inv
	ds_write_b16 v39, v45
	ds_write_b16 v39, v46 offset:6
	ds_write_b16 v39, v49 offset:12
	;; [unrolled: 1-line block ×5, first 2 shown]
	ds_write_b16 v37, v53
	ds_write_b16 v37, v54 offset:6
	ds_write_b16 v37, v55 offset:12
	;; [unrolled: 1-line block ×5, first 2 shown]
	s_and_saveexec_b32 s4, s1
	s_cbranch_execz .LBB0_27
; %bb.26:
	v_add_f16_e32 v1, v1, v40
	v_add_f16_e32 v15, v38, v41
	v_mov_b32_e32 v37, 36
	v_mov_b32_e32 v38, 1
	v_add_f16_e32 v0, v0, v43
	v_add_f16_e32 v1, v1, v3
	;; [unrolled: 1-line block ×3, first 2 shown]
	v_mul_u32_u24_sdwa v12, v22, v37 dst_sel:DWORD dst_unused:UNUSED_PAD src0_sel:WORD_0 src1_sel:DWORD
	v_lshlrev_b32_sdwa v15, v38, v23 dst_sel:DWORD dst_unused:UNUSED_PAD src0_sel:DWORD src1_sel:BYTE_0
	v_add_f16_e32 v22, v1, v3
	v_sub_f16_e32 v1, v1, v3
	v_add3_u32 v12, 0, v12, v15
	v_add_f16_e32 v15, v44, v42
	ds_write_b16 v12, v22
	ds_write_b16 v12, v15 offset:6
	ds_write_b16 v12, v0 offset:12
	ds_write_b16 v12, v1 offset:18
	ds_write_b16 v12, v19 offset:24
	ds_write_b16 v12, v20 offset:30
.LBB0_27:
	s_or_b32 exec_lo, exec_lo, s4
	v_mul_lo_u16 v0, v2, 57
	v_mov_b32_e32 v1, 15
	s_waitcnt lgkmcnt(0)
	s_barrier
	buffer_gl0_inv
	v_lshrrev_b16 v15, 10, v0
	v_mov_b32_e32 v23, 0x120
	v_mul_lo_u16 v0, v15, 18
	v_mul_u32_u24_sdwa v15, v15, v23 dst_sel:DWORD dst_unused:UNUSED_PAD src0_sel:WORD_0 src1_sel:DWORD
	v_sub_nc_u16 v22, v16, v0
	v_mul_u32_u24_sdwa v0, v22, v1 dst_sel:DWORD dst_unused:UNUSED_PAD src0_sel:BYTE_0 src1_sel:DWORD
	v_or_b32_sdwa v15, v15, v22 dst_sel:DWORD dst_unused:UNUSED_PAD src0_sel:DWORD src1_sel:BYTE_0
	v_lshlrev_b32_e32 v12, 2, v0
	v_lshl_add_u32 v15, v15, 1, 0
	s_clause 0x3
	global_load_dwordx4 v[37:40], v12, s[8:9] offset:60
	global_load_dwordx4 v[0:3], v12, s[8:9] offset:76
	;; [unrolled: 1-line block ×3, first 2 shown]
	global_load_dwordx3 v[45:47], v12, s[8:9] offset:108
	ds_read_u16 v12, v8
	ds_read_u16 v48, v8 offset:108
	ds_read_u16 v49, v10 offset:216
	;; [unrolled: 1-line block ×15, first 2 shown]
	s_waitcnt vmcnt(0) lgkmcnt(0)
	s_barrier
	buffer_gl0_inv
	v_mul_f16_sdwa v61, v48, v37 dst_sel:DWORD dst_unused:UNUSED_PAD src0_sel:DWORD src1_sel:WORD_1
	v_mul_f16_sdwa v62, v35, v37 dst_sel:DWORD dst_unused:UNUSED_PAD src0_sel:DWORD src1_sel:WORD_1
	;; [unrolled: 1-line block ×29, first 2 shown]
	v_fmac_f16_e32 v61, v35, v37
	v_fma_f16 v35, v48, v37, -v62
	v_fmac_f16_e32 v63, v36, v38
	v_fma_f16 v36, v49, v38, -v64
	;; [unrolled: 2-line block ×3, first 2 shown]
	v_fma_f16 v39, v51, v40, -v68
	v_fmac_f16_e32 v69, v30, v0
	v_fma_f16 v0, v52, v0, -v70
	v_fmac_f16_e32 v71, v33, v1
	;; [unrolled: 2-line block ×4, first 2 shown]
	v_fmac_f16_e32 v76, v29, v41
	v_fma_f16 v29, v55, v41, -v77
	v_fmac_f16_e32 v78, v28, v42
	v_fma_f16 v28, v56, v42, -v79
	v_fmac_f16_e32 v80, v27, v43
	v_fmac_f16_e32 v82, v26, v44
	v_fma_f16 v22, v22, v44, -v83
	v_fmac_f16_e32 v84, v25, v45
	v_fma_f16 v25, v58, v45, -v85
	;; [unrolled: 2-line block ×5, first 2 shown]
	v_sub_f16_e32 v30, v13, v75
	v_sub_f16_e32 v41, v39, v22
	;; [unrolled: 1-line block ×15, first 2 shown]
	v_fma_f16 v42, v63, 2.0, -v22
	v_fma_f16 v45, v36, 2.0, -v28
	;; [unrolled: 1-line block ×10, first 2 shown]
	v_add_f16_e32 v50, v30, v41
	v_add_f16_e32 v51, v22, v26
	v_sub_f16_e32 v52, v28, v31
	v_add_f16_e32 v25, v32, v25
	v_add_f16_e32 v24, v37, v24
	v_fma_f16 v40, v13, 2.0, -v30
	v_fma_f16 v13, v67, 2.0, -v14
	;; [unrolled: 1-line block ×4, first 2 shown]
	v_sub_f16_e32 v26, v29, v33
	v_sub_f16_e32 v31, v27, v38
	v_fma_f16 v30, v30, 2.0, -v50
	v_sub_f16_e32 v1, v42, v36
	v_fma_f16 v53, v22, 2.0, -v51
	v_fma_f16 v55, v28, 2.0, -v52
	v_sub_f16_e32 v22, v44, v46
	v_sub_f16_e32 v28, v35, v0
	v_fma_f16 v32, v32, 2.0, -v25
	v_sub_f16_e32 v36, v47, v49
	v_fma_f16 v37, v37, 2.0, -v24
	v_sub_f16_e32 v33, v40, v13
	v_sub_f16_e32 v48, v45, v43
	v_fma_f16 v29, v29, 2.0, -v26
	v_sub_f16_e32 v38, v34, v2
	v_fma_f16 v27, v27, 2.0, -v31
	v_fmamk_f16 v54, v51, 0x39a8, v50
	v_fmamk_f16 v0, v24, 0x39a8, v25
	v_fma_f16 v44, v44, 2.0, -v22
	v_fma_f16 v49, v35, 2.0, -v28
	;; [unrolled: 1-line block ×3, first 2 shown]
	v_fmamk_f16 v57, v53, 0xb9a8, v30
	v_fmamk_f16 v2, v37, 0xb9a8, v32
	;; [unrolled: 1-line block ×3, first 2 shown]
	v_fma_f16 v56, v40, 2.0, -v33
	v_fma_f16 v42, v42, 2.0, -v1
	v_add_f16_e32 v58, v33, v48
	v_fmamk_f16 v40, v27, 0xb9a8, v29
	v_add_f16_e32 v59, v22, v38
	v_fmac_f16_e32 v54, 0x39a8, v52
	v_fmac_f16_e32 v0, 0x39a8, v31
	v_fma_f16 v34, v34, 2.0, -v38
	v_sub_f16_e32 v60, v28, v36
	v_fmac_f16_e32 v57, 0x39a8, v55
	v_sub_f16_e32 v43, v44, v35
	v_fmac_f16_e32 v2, 0x39a8, v27
	v_fmac_f16_e32 v13, 0xb9a8, v24
	v_sub_f16_e32 v24, v56, v42
	v_fma_f16 v31, v33, 2.0, -v58
	v_fmac_f16_e32 v40, 0xb9a8, v37
	v_fma_f16 v61, v22, 2.0, -v59
	v_fma_f16 v33, v50, 2.0, -v54
	;; [unrolled: 1-line block ×3, first 2 shown]
	v_sub_f16_e32 v50, v49, v34
	v_fma_f16 v62, v28, 2.0, -v60
	v_fma_f16 v27, v30, 2.0, -v57
	;; [unrolled: 1-line block ×5, first 2 shown]
	v_fmamk_f16 v25, v59, 0x39a8, v58
	v_fma_f16 v26, v56, 2.0, -v24
	v_fmamk_f16 v22, v0, 0x3b64, v54
	v_fma_f16 v47, v29, 2.0, -v40
	v_fmamk_f16 v29, v61, 0xb9a8, v31
	v_fmamk_f16 v30, v42, 0xb61f, v33
	;; [unrolled: 1-line block ×3, first 2 shown]
	v_add_f16_e32 v32, v24, v50
	v_fmamk_f16 v35, v44, 0xbb64, v27
	v_fmac_f16_e32 v25, 0x39a8, v60
	v_sub_f16_e32 v28, v26, v28
	v_fmac_f16_e32 v22, 0x361f, v13
	v_fmac_f16_e32 v29, 0x39a8, v62
	;; [unrolled: 1-line block ×4, first 2 shown]
	v_fma_f16 v24, v24, 2.0, -v32
	v_fmac_f16_e32 v35, 0x361f, v47
	v_fma_f16 v36, v58, 2.0, -v25
	ds_write_b16 v15, v32 offset:432
	ds_write_b16 v15, v25 offset:504
	;; [unrolled: 1-line block ×3, first 2 shown]
	v_fma_f16 v25, v26, 2.0, -v28
	v_fma_f16 v37, v54, 2.0, -v22
	;; [unrolled: 1-line block ×5, first 2 shown]
	ds_write_b16 v15, v24 offset:144
	ds_write_b16 v15, v36 offset:216
	;; [unrolled: 1-line block ×7, first 2 shown]
	v_fma_f16 v24, v27, 2.0, -v35
	ds_write_b16 v15, v25
	ds_write_b16 v15, v26 offset:72
	ds_write_b16 v15, v31 offset:108
	;; [unrolled: 1-line block ×5, first 2 shown]
	s_waitcnt lgkmcnt(0)
	s_barrier
	buffer_gl0_inv
	ds_read_u16 v28, v8
	ds_read_u16 v30, v8 offset:792
	ds_read_u16 v33, v8 offset:900
	;; [unrolled: 1-line block ×14, first 2 shown]
	v_mul_f16_e32 v54, 0x39a8, v53
	v_mul_f16_e32 v57, 0x39a8, v55
	;; [unrolled: 1-line block ×8, first 2 shown]
	s_and_saveexec_b32 s1, vcc_lo
	s_cbranch_execz .LBB0_29
; %bb.28:
	ds_read_u16 v17, v8 offset:1116
	ds_read_u16 v22, v10 offset:540
	;; [unrolled: 1-line block ×3, first 2 shown]
.LBB0_29:
	s_or_b32 exec_lo, exec_lo, s1
	v_mul_f16_sdwa v11, v11, v3 dst_sel:DWORD dst_unused:UNUSED_PAD src0_sel:DWORD src1_sel:WORD_1
	s_waitcnt lgkmcnt(0)
	s_barrier
	buffer_gl0_inv
	v_fma_f16 v3, v23, v3, -v11
	v_fma_f16 v11, v39, 2.0, -v41
	v_fma_f16 v23, v45, 2.0, -v48
	;; [unrolled: 1-line block ×3, first 2 shown]
	v_sub_f16_e32 v3, v12, v3
	v_fma_f16 v12, v12, 2.0, -v3
	v_sub_f16_e32 v14, v3, v14
	v_sub_f16_e32 v11, v12, v11
	v_fma_f16 v3, v3, 2.0, -v14
	v_add_f16_e32 v41, v14, v58
	v_fma_f16 v12, v12, 2.0, -v11
	v_sub_f16_e32 v45, v3, v57
	v_sub_f16_e32 v1, v11, v1
	;; [unrolled: 1-line block ×5, first 2 shown]
	v_fma_f16 v11, v11, 2.0, -v1
	v_fma_f16 v14, v14, 2.0, -v41
	v_fmamk_f16 v23, v13, 0x3b64, v41
	v_fma_f16 v12, v12, 2.0, -v48
	v_fma_f16 v3, v3, 2.0, -v45
	v_add_f16_e32 v49, v1, v55
	v_sub_f16_e32 v13, v11, v53
	v_fmamk_f16 v46, v46, 0xb61f, v14
	v_fmamk_f16 v40, v40, 0x361f, v45
	v_sub_f16_e32 v43, v48, v43
	v_fmac_f16_e32 v23, 0xb61f, v0
	v_sub_f16_e32 v0, v12, v39
	v_fmamk_f16 v39, v47, 0xbb64, v3
	v_sub_f16_e32 v49, v49, v52
	v_sub_f16_e32 v13, v13, v51
	v_fmac_f16_e32 v46, 0xbb64, v42
	v_fmac_f16_e32 v40, 0xbb64, v2
	v_fma_f16 v42, v48, 2.0, -v43
	v_fma_f16 v12, v12, 2.0, -v0
	v_fmac_f16_e32 v39, 0xb61f, v44
	v_fma_f16 v1, v1, 2.0, -v49
	v_fma_f16 v11, v11, 2.0, -v13
	;; [unrolled: 1-line block ×5, first 2 shown]
	ds_write_b16 v15, v42 offset:144
	ds_write_b16 v15, v1 offset:216
	ds_write_b16 v15, v2 offset:252
	ds_write_b16 v15, v0 offset:288
	v_fma_f16 v0, v3, 2.0, -v39
	ds_write_b16 v15, v12
	ds_write_b16 v15, v11 offset:72
	ds_write_b16 v15, v14 offset:108
	;; [unrolled: 1-line block ×11, first 2 shown]
	s_waitcnt lgkmcnt(0)
	s_barrier
	buffer_gl0_inv
	ds_read_u16 v43, v8
	ds_read_u16 v41, v8 offset:684
	ds_read_u16 v45, v8 offset:792
	ds_read_u16 v48, v8 offset:900
	ds_read_u16 v49, v8 offset:1152
	ds_read_u16 v52, v8 offset:1008
	ds_read_u16 v51, v8 offset:576
	ds_read_u16 v39, v8 offset:108
	ds_read_u16 v42, v8 offset:1260
	ds_read_u16 v46, v8 offset:1368
	ds_read_u16 v50, v8 offset:1476
	ds_read_u16 v44, v10 offset:324
	ds_read_u16 v47, v10 offset:432
	ds_read_u16 v40, v10 offset:216
	ds_read_u16 v53, v8 offset:1584
	s_and_saveexec_b32 s1, vcc_lo
	s_cbranch_execz .LBB0_31
; %bb.30:
	ds_read_u16 v19, v8 offset:1116
	ds_read_u16 v23, v10 offset:540
	;; [unrolled: 1-line block ×3, first 2 shown]
.LBB0_31:
	s_or_b32 exec_lo, exec_lo, s1
	s_and_saveexec_b32 s1, s0
	s_cbranch_execz .LBB0_34
; %bb.32:
	v_lshlrev_b32_e32 v2, 1, v16
	v_mov_b32_e32 v1, 0
	v_add_nc_u32_e32 v60, 54, v16
	v_mul_hi_u32 v61, 0x38e38e39, v16
	v_lshlrev_b64 v[54:55], 2, v[4:5]
	v_add_nc_u32_e32 v0, 0x1b0, v2
	v_mov_b32_e32 v3, v1
	v_mul_hi_u32 v5, 0x38e38e39, v60
	v_add_nc_u32_e32 v62, 0x6c, v16
	v_add_nc_u32_e32 v63, 0xa2, v16
	v_lshlrev_b64 v[10:11], 2, v[0:1]
	v_lshlrev_b64 v[12:13], 2, v[2:3]
	v_add_nc_u32_e32 v0, 0x144, v2
	v_lshrrev_b32_e32 v61, 6, v61
	v_add_nc_u32_e32 v64, 0xd8, v16
	v_mul_hi_u32 v65, 0x38e38e39, v62
	v_add_co_u32 v2, s0, s8, v10
	v_add_co_ci_u32_e64 v3, s0, s9, v11, s0
	v_add_co_u32 v10, s0, s8, v12
	v_add_co_ci_u32_e64 v11, s0, s9, v13, s0
	global_load_dwordx2 v[12:13], v[2:3], off offset:1140
	v_mul_hi_u32 v66, 0x38e38e39, v63
	v_mul_hi_u32 v67, 0x38e38e39, v64
	global_load_dwordx2 v[10:11], v[10:11], off offset:1140
	v_lshlrev_b64 v[2:3], 2, v[0:1]
	v_lshlrev_b32_e32 v0, 1, v9
	v_mov_b32_e32 v56, v1
	v_mov_b32_e32 v57, v1
	;; [unrolled: 1-line block ×3, first 2 shown]
	v_lshrrev_b32_e32 v74, 6, v66
	v_add_co_u32 v2, s0, s8, v2
	v_lshlrev_b64 v[8:9], 2, v[0:1]
	v_add_co_ci_u32_e64 v3, s0, s9, v3, s0
	v_lshlrev_b32_e32 v0, 1, v21
	v_mul_lo_u32 v21, s2, v7
	v_lshrrev_b32_e32 v78, 6, v67
	global_load_dwordx2 v[14:15], v[2:3], off offset:1140
	v_add_co_u32 v2, s0, s8, v8
	v_add_co_ci_u32_e64 v3, s0, s9, v9, s0
	v_mul_u32_u24_e32 v66, 0x120, v74
	v_mul_u32_u24_e32 v67, 0x120, v78
	v_mov_b32_e32 v59, v1
	global_load_dwordx2 v[8:9], v[2:3], off offset:1140
	v_lshlrev_b64 v[2:3], 2, v[0:1]
	v_mul_lo_u32 v0, s3, v6
	v_mad_u64_u32 v[6:7], null, s2, v6, 0
	v_sub_nc_u32_e32 v75, v63, v66
	v_sub_nc_u32_e32 v79, v64, v67
	v_add_co_u32 v2, s0, s8, v2
	v_add_co_ci_u32_e64 v3, s0, s9, v3, s0
	v_add3_u32 v7, v7, v21, v0
	v_lshrrev_b32_e32 v0, 6, v5
	v_lshrrev_b32_e32 v21, 6, v65
	global_load_dwordx2 v[2:3], v[2:3], off offset:1140
	v_add_nc_u32_e32 v4, 0x10e, v16
	v_lshlrev_b64 v[5:6], 2, v[6:7]
	v_mul_u32_u24_e32 v7, 0x120, v61
	v_mul_u32_u24_e32 v61, 0x120, v0
	;; [unrolled: 1-line block ×3, first 2 shown]
	v_cmp_gt_u32_e64 s0, 0x120, v4
	v_add_co_u32 v5, s1, s14, v5
	v_sub_nc_u32_e32 v60, v60, v61
	v_sub_nc_u32_e32 v7, v16, v7
	v_add_co_ci_u32_e64 v68, s1, s15, v6, s1
	v_add_co_u32 v6, s1, v5, v54
	v_mad_u32_u24 v0, 0x360, v0, v60
	v_sub_nc_u32_e32 v69, v62, v65
	v_lshlrev_b32_e32 v61, 2, v7
	v_add_co_ci_u32_e64 v7, s1, v68, v55, s1
	v_lshlrev_b64 v[62:63], 2, v[0:1]
	v_add_nc_u32_e32 v55, 0x120, v0
	v_add_nc_u32_e32 v0, 0x240, v0
	v_add_co_u32 v60, s1, v6, v61
	v_add_co_ci_u32_e64 v61, s1, 0, v7, s1
	v_lshlrev_b64 v[66:67], 2, v[0:1]
	v_mad_u32_u24 v0, 0x360, v21, v69
	v_lshlrev_b64 v[54:55], 2, v[55:56]
	v_add_co_u32 v64, s1, 0x800, v60
	v_add_co_ci_u32_e64 v65, s1, 0, v61, s1
	v_lshlrev_b64 v[68:69], 2, v[0:1]
	v_add_nc_u32_e32 v56, 0x120, v0
	v_add_nc_u32_e32 v0, 0x240, v0
	v_add_co_u32 v62, s1, v6, v62
	v_add_co_ci_u32_e64 v63, s1, v7, v63, s1
	v_lshlrev_b64 v[72:73], 2, v[0:1]
	v_mad_u32_u24 v0, 0x360, v74, v75
	v_lshlrev_b64 v[70:71], 2, v[56:57]
	v_add_co_u32 v54, s1, v6, v54
	;; [unrolled: 10-line block ×3, first 2 shown]
	v_add_co_ci_u32_e64 v69, s1, v7, v69, s1
	v_lshlrev_b64 v[78:79], 2, v[0:1]
	v_add_nc_u32_e32 v58, 0x120, v0
	v_add_nc_u32_e32 v0, 0x240, v0
	v_add_co_u32 v70, s1, v6, v70
	v_add_co_ci_u32_e64 v71, s1, v7, v71, s1
	v_lshlrev_b64 v[80:81], 2, v[0:1]
	v_add_co_u32 v72, s1, v6, v72
	v_add_co_ci_u32_e64 v73, s1, v7, v73, s1
	v_add_co_u32 v74, s1, v6, v74
	v_add_co_ci_u32_e64 v75, s1, v7, v75, s1
	;; [unrolled: 2-line block ×3, first 2 shown]
	v_add_co_u32 v76, s1, v6, v76
	v_lshlrev_b64 v[58:59], 2, v[58:59]
	v_add_co_ci_u32_e64 v77, s1, v7, v77, s1
	v_add_co_u32 v78, s1, v6, v78
	v_add_co_ci_u32_e64 v79, s1, v7, v79, s1
	v_add_co_u32 v58, s1, v6, v58
	;; [unrolled: 2-line block ×3, first 2 shown]
	v_add_co_ci_u32_e64 v81, s1, v7, v81, s1
	s_waitcnt vmcnt(4)
	v_mul_f16_sdwa v0, v37, v12 dst_sel:DWORD dst_unused:UNUSED_PAD src0_sel:DWORD src1_sel:WORD_1
	v_mul_f16_sdwa v5, v38, v13 dst_sel:DWORD dst_unused:UNUSED_PAD src0_sel:DWORD src1_sel:WORD_1
	s_waitcnt lgkmcnt(9)
	v_mul_f16_sdwa v21, v52, v12 dst_sel:DWORD dst_unused:UNUSED_PAD src0_sel:DWORD src1_sel:WORD_1
	s_waitcnt lgkmcnt(0)
	v_mul_f16_sdwa v82, v53, v13 dst_sel:DWORD dst_unused:UNUSED_PAD src0_sel:DWORD src1_sel:WORD_1
	s_waitcnt vmcnt(3)
	v_mul_f16_sdwa v83, v36, v10 dst_sel:DWORD dst_unused:UNUSED_PAD src0_sel:DWORD src1_sel:WORD_1
	v_mul_f16_sdwa v84, v34, v11 dst_sel:DWORD dst_unused:UNUSED_PAD src0_sel:DWORD src1_sel:WORD_1
	;; [unrolled: 1-line block ×4, first 2 shown]
	v_fma_f16 v0, v52, v12, -v0
	v_fma_f16 v5, v53, v13, -v5
	v_fmac_f16_e32 v21, v37, v12
	v_fmac_f16_e32 v82, v38, v13
	v_fma_f16 v12, v51, v10, -v83
	v_fma_f16 v13, v49, v11, -v84
	v_fmac_f16_e32 v85, v36, v10
	v_fmac_f16_e32 v86, v34, v11
	v_sub_f16_e32 v49, v0, v5
	s_waitcnt vmcnt(2)
	v_mul_f16_sdwa v10, v33, v14 dst_sel:DWORD dst_unused:UNUSED_PAD src0_sel:DWORD src1_sel:WORD_1
	v_mul_f16_sdwa v36, v35, v15 dst_sel:DWORD dst_unused:UNUSED_PAD src0_sel:DWORD src1_sel:WORD_1
	;; [unrolled: 1-line block ×4, first 2 shown]
	v_sub_f16_e32 v53, v12, v13
	v_fma_f16 v10, v48, v14, -v10
	v_fma_f16 v11, v50, v15, -v36
	v_fmac_f16_e32 v37, v33, v14
	v_fmac_f16_e32 v38, v35, v15
	s_waitcnt vmcnt(1)
	v_mul_f16_sdwa v14, v30, v8 dst_sel:DWORD dst_unused:UNUSED_PAD src0_sel:DWORD src1_sel:WORD_1
	v_mul_f16_sdwa v15, v31, v9 dst_sel:DWORD dst_unused:UNUSED_PAD src0_sel:DWORD src1_sel:WORD_1
	;; [unrolled: 1-line block ×4, first 2 shown]
	v_add_f16_e32 v35, v0, v5
	v_sub_f16_e32 v36, v21, v82
	v_add_f16_e32 v48, v21, v82
	v_add_f16_e32 v0, v47, v0
	;; [unrolled: 1-line block ×7, first 2 shown]
	v_fma_f16 v14, v45, v8, -v14
	v_fma_f16 v15, v46, v9, -v15
	v_fmac_f16_e32 v33, v30, v8
	v_fmac_f16_e32 v34, v31, v9
	v_fma_f16 v8, -0.5, v35, v47
	v_add_f16_e32 v0, v0, v5
	v_add_f16_e32 v5, v21, v82
	v_fma_f16 v21, -0.5, v50, v43
	v_add_f16_e32 v30, v10, v11
	v_sub_f16_e32 v31, v37, v38
	v_add_f16_e32 v12, v12, v13
	v_add_f16_e32 v13, v37, v38
	v_sub_f16_e32 v35, v10, v11
	v_add_f16_e32 v10, v44, v10
	v_add_f16_e32 v37, v29, v37
	s_waitcnt vmcnt(0)
	v_mul_f16_sdwa v43, v26, v2 dst_sel:DWORD dst_unused:UNUSED_PAD src0_sel:DWORD src1_sel:WORD_1
	v_mul_f16_sdwa v45, v27, v3 dst_sel:DWORD dst_unused:UNUSED_PAD src0_sel:DWORD src1_sel:WORD_1
	;; [unrolled: 1-line block ×4, first 2 shown]
	v_sub_f16_e32 v51, v85, v86
	v_fma_f16 v9, -0.5, v48, v32
	v_fma_f16 v28, -0.5, v52, v28
	v_add_f16_e32 v32, v83, v86
	v_fma_f16 v13, -0.5, v13, v29
	v_add_f16_e32 v10, v10, v11
	v_add_f16_e32 v11, v37, v38
	v_fma_f16 v29, v41, v2, -v43
	v_fma_f16 v37, v42, v3, -v45
	v_fmac_f16_e32 v46, v26, v2
	v_add_f16_e32 v2, v14, v15
	v_fmac_f16_e32 v47, v27, v3
	v_sub_f16_e32 v3, v33, v34
	v_add_f16_e32 v26, v33, v34
	v_sub_f16_e32 v41, v14, v15
	v_add_f16_e32 v14, v40, v14
	v_add_f16_e32 v33, v25, v33
	v_fma_f16 v30, -0.5, v30, v44
	v_fmamk_f16 v27, v51, 0xbaee, v21
	v_fmac_f16_e32 v21, 0x3aee, v51
	v_fmamk_f16 v38, v53, 0x3aee, v28
	v_fmac_f16_e32 v28, 0xbaee, v53
	v_pack_b32_f16 v12, v32, v12
	v_fma_f16 v2, -0.5, v2, v40
	v_fma_f16 v25, -0.5, v26, v25
	v_add_f16_e32 v14, v14, v15
	v_add_f16_e32 v15, v33, v34
	;; [unrolled: 1-line block ×4, first 2 shown]
	v_fmamk_f16 v32, v35, 0x3aee, v13
	v_fmac_f16_e32 v13, 0xbaee, v35
	v_sub_f16_e32 v34, v29, v37
	v_add_f16_e32 v29, v39, v29
	v_add_f16_e32 v35, v24, v46
	v_pack_b32_f16 v0, v5, v0
	v_fmamk_f16 v5, v31, 0xbaee, v30
	v_fmac_f16_e32 v30, 0x3aee, v31
	v_sub_f16_e32 v31, v46, v47
	global_store_dword v[60:61], v12, off
	v_pack_b32_f16 v12, v28, v21
	v_pack_b32_f16 v10, v11, v10
	v_fmamk_f16 v11, v3, 0xbaee, v2
	v_fmac_f16_e32 v2, 0x3aee, v3
	v_fma_f16 v3, -0.5, v26, v39
	v_fma_f16 v24, -0.5, v33, v24
	v_pack_b32_f16 v21, v38, v27
	v_add_f16_e32 v26, v29, v37
	v_add_f16_e32 v28, v35, v47
	global_store_dword v[60:61], v12, off offset:1152
	global_store_dword v[64:65], v21, off offset:256
	v_fmamk_f16 v12, v31, 0xbaee, v3
	v_fmamk_f16 v21, v34, 0x3aee, v24
	v_fmac_f16_e32 v3, 0x3aee, v31
	v_fmac_f16_e32 v24, 0xbaee, v34
	v_fmamk_f16 v27, v41, 0x3aee, v25
	v_fmac_f16_e32 v25, 0xbaee, v41
	v_fmamk_f16 v48, v36, 0xbaee, v8
	;; [unrolled: 2-line block ×3, first 2 shown]
	v_fmac_f16_e32 v9, 0xbaee, v49
	v_pack_b32_f16 v14, v15, v14
	v_pack_b32_f16 v15, v28, v26
	;; [unrolled: 1-line block ×10, first 2 shown]
	global_store_dword v[62:63], v15, off
	global_store_dword v[54:55], v3, off
	;; [unrolled: 1-line block ×12, first 2 shown]
	s_and_b32 exec_lo, exec_lo, s0
	s_cbranch_execz .LBB0_34
; %bb.33:
	v_mov_b32_e32 v0, 0x10e
	v_mov_b32_e32 v5, v1
	v_cndmask_b32_e32 v0, 0xffffffee, v0, vcc_lo
	v_lshlrev_b64 v[4:5], 2, v[4:5]
	v_add_lshl_u32 v0, v16, v0, 1
	v_lshlrev_b64 v[2:3], 2, v[0:1]
	v_add_nc_u32_e32 v0, 0x22e, v16
	v_lshlrev_b64 v[8:9], 2, v[0:1]
	v_add_co_u32 v2, vcc_lo, s8, v2
	v_add_co_ci_u32_e32 v3, vcc_lo, s9, v3, vcc_lo
	v_add_co_u32 v4, vcc_lo, v6, v4
	v_add_co_ci_u32_e32 v5, vcc_lo, v7, v5, vcc_lo
	global_load_dwordx2 v[2:3], v[2:3], off offset:1140
	v_add_nc_u32_e32 v0, 0x34e, v16
	v_lshlrev_b64 v[0:1], 2, v[0:1]
	s_waitcnt vmcnt(0)
	v_mul_f16_sdwa v10, v19, v2 dst_sel:DWORD dst_unused:UNUSED_PAD src0_sel:DWORD src1_sel:WORD_1
	v_mul_f16_sdwa v11, v17, v2 dst_sel:DWORD dst_unused:UNUSED_PAD src0_sel:DWORD src1_sel:WORD_1
	;; [unrolled: 1-line block ×4, first 2 shown]
	v_fmac_f16_e32 v10, v17, v2
	v_fma_f16 v11, v19, v2, -v11
	v_fmac_f16_e32 v12, v18, v3
	v_fma_f16 v13, v20, v3, -v13
	v_add_co_u32 v2, vcc_lo, v6, v8
	v_add_co_ci_u32_e32 v3, vcc_lo, v7, v9, vcc_lo
	v_add_f16_e32 v8, v10, v12
	v_add_f16_e32 v14, v11, v13
	;; [unrolled: 1-line block ×3, first 2 shown]
	v_sub_f16_e32 v15, v11, v13
	v_add_f16_e32 v11, v23, v11
	v_fmac_f16_e32 v22, -0.5, v8
	v_sub_f16_e32 v8, v10, v12
	v_fmac_f16_e32 v23, -0.5, v14
	v_add_f16_e32 v9, v9, v12
	v_add_f16_e32 v10, v11, v13
	v_fmamk_f16 v11, v15, 0xbaee, v22
	v_fmac_f16_e32 v22, 0x3aee, v15
	v_fmamk_f16 v12, v8, 0x3aee, v23
	v_fmac_f16_e32 v23, 0xbaee, v8
	v_add_co_u32 v0, vcc_lo, v6, v0
	v_pack_b32_f16 v6, v9, v10
	v_add_co_ci_u32_e32 v1, vcc_lo, v7, v1, vcc_lo
	v_pack_b32_f16 v7, v11, v12
	v_pack_b32_f16 v8, v22, v23
	global_store_dword v[4:5], v6, off
	global_store_dword v[2:3], v7, off
	;; [unrolled: 1-line block ×3, first 2 shown]
.LBB0_34:
	s_endpgm
	.section	.rodata,"a",@progbits
	.p2align	6, 0x0
	.amdhsa_kernel fft_rtc_back_len864_factors_3_6_16_3_wgs_54_tpt_54_halfLds_half_op_CI_CI_unitstride_sbrr_dirReg
		.amdhsa_group_segment_fixed_size 0
		.amdhsa_private_segment_fixed_size 0
		.amdhsa_kernarg_size 104
		.amdhsa_user_sgpr_count 6
		.amdhsa_user_sgpr_private_segment_buffer 1
		.amdhsa_user_sgpr_dispatch_ptr 0
		.amdhsa_user_sgpr_queue_ptr 0
		.amdhsa_user_sgpr_kernarg_segment_ptr 1
		.amdhsa_user_sgpr_dispatch_id 0
		.amdhsa_user_sgpr_flat_scratch_init 0
		.amdhsa_user_sgpr_private_segment_size 0
		.amdhsa_wavefront_size32 1
		.amdhsa_uses_dynamic_stack 0
		.amdhsa_system_sgpr_private_segment_wavefront_offset 0
		.amdhsa_system_sgpr_workgroup_id_x 1
		.amdhsa_system_sgpr_workgroup_id_y 0
		.amdhsa_system_sgpr_workgroup_id_z 0
		.amdhsa_system_sgpr_workgroup_info 0
		.amdhsa_system_vgpr_workitem_id 0
		.amdhsa_next_free_vgpr 90
		.amdhsa_next_free_sgpr 27
		.amdhsa_reserve_vcc 1
		.amdhsa_reserve_flat_scratch 0
		.amdhsa_float_round_mode_32 0
		.amdhsa_float_round_mode_16_64 0
		.amdhsa_float_denorm_mode_32 3
		.amdhsa_float_denorm_mode_16_64 3
		.amdhsa_dx10_clamp 1
		.amdhsa_ieee_mode 1
		.amdhsa_fp16_overflow 0
		.amdhsa_workgroup_processor_mode 1
		.amdhsa_memory_ordered 1
		.amdhsa_forward_progress 0
		.amdhsa_shared_vgpr_count 0
		.amdhsa_exception_fp_ieee_invalid_op 0
		.amdhsa_exception_fp_denorm_src 0
		.amdhsa_exception_fp_ieee_div_zero 0
		.amdhsa_exception_fp_ieee_overflow 0
		.amdhsa_exception_fp_ieee_underflow 0
		.amdhsa_exception_fp_ieee_inexact 0
		.amdhsa_exception_int_div_zero 0
	.end_amdhsa_kernel
	.text
.Lfunc_end0:
	.size	fft_rtc_back_len864_factors_3_6_16_3_wgs_54_tpt_54_halfLds_half_op_CI_CI_unitstride_sbrr_dirReg, .Lfunc_end0-fft_rtc_back_len864_factors_3_6_16_3_wgs_54_tpt_54_halfLds_half_op_CI_CI_unitstride_sbrr_dirReg
                                        ; -- End function
	.section	.AMDGPU.csdata,"",@progbits
; Kernel info:
; codeLenInByte = 9316
; NumSgprs: 29
; NumVgprs: 90
; ScratchSize: 0
; MemoryBound: 0
; FloatMode: 240
; IeeeMode: 1
; LDSByteSize: 0 bytes/workgroup (compile time only)
; SGPRBlocks: 3
; VGPRBlocks: 11
; NumSGPRsForWavesPerEU: 29
; NumVGPRsForWavesPerEU: 90
; Occupancy: 10
; WaveLimiterHint : 1
; COMPUTE_PGM_RSRC2:SCRATCH_EN: 0
; COMPUTE_PGM_RSRC2:USER_SGPR: 6
; COMPUTE_PGM_RSRC2:TRAP_HANDLER: 0
; COMPUTE_PGM_RSRC2:TGID_X_EN: 1
; COMPUTE_PGM_RSRC2:TGID_Y_EN: 0
; COMPUTE_PGM_RSRC2:TGID_Z_EN: 0
; COMPUTE_PGM_RSRC2:TIDIG_COMP_CNT: 0
	.text
	.p2alignl 6, 3214868480
	.fill 48, 4, 3214868480
	.type	__hip_cuid_ab47ccefce44129,@object ; @__hip_cuid_ab47ccefce44129
	.section	.bss,"aw",@nobits
	.globl	__hip_cuid_ab47ccefce44129
__hip_cuid_ab47ccefce44129:
	.byte	0                               ; 0x0
	.size	__hip_cuid_ab47ccefce44129, 1

	.ident	"AMD clang version 19.0.0git (https://github.com/RadeonOpenCompute/llvm-project roc-6.4.0 25133 c7fe45cf4b819c5991fe208aaa96edf142730f1d)"
	.section	".note.GNU-stack","",@progbits
	.addrsig
	.addrsig_sym __hip_cuid_ab47ccefce44129
	.amdgpu_metadata
---
amdhsa.kernels:
  - .args:
      - .actual_access:  read_only
        .address_space:  global
        .offset:         0
        .size:           8
        .value_kind:     global_buffer
      - .offset:         8
        .size:           8
        .value_kind:     by_value
      - .actual_access:  read_only
        .address_space:  global
        .offset:         16
        .size:           8
        .value_kind:     global_buffer
      - .actual_access:  read_only
        .address_space:  global
        .offset:         24
        .size:           8
        .value_kind:     global_buffer
      - .actual_access:  read_only
        .address_space:  global
        .offset:         32
        .size:           8
        .value_kind:     global_buffer
      - .offset:         40
        .size:           8
        .value_kind:     by_value
      - .actual_access:  read_only
        .address_space:  global
        .offset:         48
        .size:           8
        .value_kind:     global_buffer
      - .actual_access:  read_only
        .address_space:  global
        .offset:         56
        .size:           8
        .value_kind:     global_buffer
      - .offset:         64
        .size:           4
        .value_kind:     by_value
      - .actual_access:  read_only
        .address_space:  global
        .offset:         72
        .size:           8
        .value_kind:     global_buffer
      - .actual_access:  read_only
        .address_space:  global
        .offset:         80
        .size:           8
        .value_kind:     global_buffer
      - .actual_access:  read_only
        .address_space:  global
        .offset:         88
        .size:           8
        .value_kind:     global_buffer
      - .actual_access:  write_only
        .address_space:  global
        .offset:         96
        .size:           8
        .value_kind:     global_buffer
    .group_segment_fixed_size: 0
    .kernarg_segment_align: 8
    .kernarg_segment_size: 104
    .language:       OpenCL C
    .language_version:
      - 2
      - 0
    .max_flat_workgroup_size: 54
    .name:           fft_rtc_back_len864_factors_3_6_16_3_wgs_54_tpt_54_halfLds_half_op_CI_CI_unitstride_sbrr_dirReg
    .private_segment_fixed_size: 0
    .sgpr_count:     29
    .sgpr_spill_count: 0
    .symbol:         fft_rtc_back_len864_factors_3_6_16_3_wgs_54_tpt_54_halfLds_half_op_CI_CI_unitstride_sbrr_dirReg.kd
    .uniform_work_group_size: 1
    .uses_dynamic_stack: false
    .vgpr_count:     90
    .vgpr_spill_count: 0
    .wavefront_size: 32
    .workgroup_processor_mode: 1
amdhsa.target:   amdgcn-amd-amdhsa--gfx1030
amdhsa.version:
  - 1
  - 2
...

	.end_amdgpu_metadata
